;; amdgpu-corpus repo=ROCm/rocFFT kind=compiled arch=gfx1201 opt=O3
	.text
	.amdgcn_target "amdgcn-amd-amdhsa--gfx1201"
	.amdhsa_code_object_version 6
	.protected	bluestein_single_fwd_len243_dim1_dp_op_CI_CI ; -- Begin function bluestein_single_fwd_len243_dim1_dp_op_CI_CI
	.globl	bluestein_single_fwd_len243_dim1_dp_op_CI_CI
	.p2align	8
	.type	bluestein_single_fwd_len243_dim1_dp_op_CI_CI,@function
bluestein_single_fwd_len243_dim1_dp_op_CI_CI: ; @bluestein_single_fwd_len243_dim1_dp_op_CI_CI
; %bb.0:
	s_load_b128 s[8:11], s[0:1], 0x28
	v_mul_u32_u24_e32 v1, 0x32a, v0
	s_mov_b32 s2, exec_lo
	s_delay_alu instid0(VALU_DEP_1) | instskip(NEXT) | instid1(VALU_DEP_1)
	v_lshrrev_b32_e32 v1, 16, v1
	v_mad_co_u64_u32 v[44:45], null, ttmp9, 3, v[1:2]
	v_mov_b32_e32 v45, 0
	s_wait_kmcnt 0x0
	s_delay_alu instid0(VALU_DEP_1)
	v_cmpx_gt_u64_e64 s[8:9], v[44:45]
	s_cbranch_execz .LBB0_2
; %bb.1:
	s_load_b128 s[4:7], s[0:1], 0x18
	v_mul_lo_u16 v1, 0x51, v1
	v_mul_hi_u32 v37, 0xaaaaaaab, v44
	s_mov_b32 s3, 0xbfebb67a
	s_delay_alu instid0(VALU_DEP_2) | instskip(NEXT) | instid1(VALU_DEP_1)
	v_sub_nc_u16 v28, v0, v1
	v_and_b32_e32 v45, 0xffff, v28
	s_delay_alu instid0(VALU_DEP_1)
	v_lshlrev_b32_e32 v47, 4, v45
	s_wait_kmcnt 0x0
	s_load_b128 s[12:15], s[4:5], 0x0
	s_wait_kmcnt 0x0
	v_mad_co_u64_u32 v[0:1], null, s14, v44, 0
	v_mad_co_u64_u32 v[2:3], null, s12, v45, 0
	s_mul_i32 s2, s13, 0x510
	s_delay_alu instid0(VALU_DEP_1) | instskip(NEXT) | instid1(VALU_DEP_1)
	v_mad_co_u64_u32 v[4:5], null, s15, v44, v[1:2]
	v_mad_co_u64_u32 v[5:6], null, s13, v45, v[3:4]
	v_mov_b32_e32 v1, v4
	s_delay_alu instid0(VALU_DEP_1) | instskip(NEXT) | instid1(VALU_DEP_3)
	v_lshlrev_b64_e32 v[0:1], 4, v[0:1]
	v_mov_b32_e32 v3, v5
	s_delay_alu instid0(VALU_DEP_2) | instskip(NEXT) | instid1(VALU_DEP_2)
	v_add_co_u32 v0, vcc_lo, s10, v0
	v_lshlrev_b64_e32 v[2:3], 4, v[2:3]
	s_delay_alu instid0(VALU_DEP_4) | instskip(SKIP_3) | instid1(VALU_DEP_2)
	v_add_co_ci_u32_e32 v1, vcc_lo, s11, v1, vcc_lo
	s_clause 0x1
	s_load_b128 s[8:11], s[0:1], 0x0
	s_load_b64 s[0:1], s[0:1], 0x38
	v_add_co_u32 v0, vcc_lo, v0, v2
	s_wait_alu 0xfffd
	v_add_co_ci_u32_e32 v1, vcc_lo, v1, v3, vcc_lo
	s_delay_alu instid0(VALU_DEP_1) | instskip(SKIP_2) | instid1(VALU_DEP_1)
	v_mad_co_u64_u32 v[8:9], null, 0x510, s12, v[0:1]
	global_load_b128 v[12:15], v[0:1], off
	v_add_nc_u32_e32 v9, s2, v9
	v_mad_co_u64_u32 v[20:21], null, 0x510, s12, v[8:9]
	s_mov_b32 s12, 0xe8584caa
	s_mov_b32 s13, 0x3febb67a
	s_delay_alu instid0(VALU_DEP_1)
	v_add_nc_u32_e32 v21, s2, v21
	s_wait_kmcnt 0x0
	s_clause 0x1
	global_load_b128 v[4:7], v47, s[8:9]
	global_load_b128 v[0:3], v47, s[8:9] offset:1296
	global_load_b128 v[16:19], v[8:9], off
	global_load_b128 v[8:11], v47, s[8:9] offset:2592
	global_load_b128 v[20:23], v[20:21], off
	s_load_b128 s[4:7], s[6:7], 0x0
	s_mov_b32 s2, s12
	s_wait_loadcnt 0x4
	v_mul_f64_e32 v[24:25], v[14:15], v[6:7]
	v_mul_f64_e32 v[26:27], v[12:13], v[6:7]
	s_wait_loadcnt 0x2
	v_mul_f64_e32 v[29:30], v[18:19], v[2:3]
	v_mul_f64_e32 v[31:32], v[16:17], v[2:3]
	;; [unrolled: 3-line block ×3, first 2 shown]
	v_fma_f64 v[12:13], v[12:13], v[4:5], v[24:25]
	v_fma_f64 v[14:15], v[14:15], v[4:5], -v[26:27]
	v_fma_f64 v[16:17], v[16:17], v[0:1], v[29:30]
	v_fma_f64 v[18:19], v[18:19], v[0:1], -v[31:32]
	;; [unrolled: 2-line block ×3, first 2 shown]
	v_lshrrev_b32_e32 v24, 1, v37
	v_and_b32_e32 v35, 0xff, v28
	s_delay_alu instid0(VALU_DEP_2) | instskip(NEXT) | instid1(VALU_DEP_1)
	v_lshl_add_u32 v24, v24, 1, v24
	v_sub_nc_u32_e32 v24, v44, v24
	s_delay_alu instid0(VALU_DEP_1) | instskip(NEXT) | instid1(VALU_DEP_1)
	v_mul_u32_u24_e32 v24, 0xf3, v24
	v_lshlrev_b32_e32 v36, 4, v24
	s_delay_alu instid0(VALU_DEP_1)
	v_add_nc_u32_e32 v46, v47, v36
	ds_store_b128 v46, v[12:15]
	ds_store_b128 v46, v[16:19] offset:1296
	ds_store_b128 v46, v[20:23] offset:2592
	global_wb scope:SCOPE_SE
	s_wait_dscnt 0x0
	s_wait_kmcnt 0x0
	s_barrier_signal -1
	s_barrier_wait -1
	global_inv scope:SCOPE_SE
	ds_load_b128 v[12:15], v46 offset:1296
	ds_load_b128 v[16:19], v46 offset:2592
	ds_load_b128 v[20:23], v46
	global_wb scope:SCOPE_SE
	s_wait_dscnt 0x0
	s_barrier_signal -1
	s_barrier_wait -1
	global_inv scope:SCOPE_SE
	v_add_f64_e32 v[24:25], v[12:13], v[16:17]
	v_add_f64_e32 v[26:27], v[14:15], v[18:19]
	;; [unrolled: 1-line block ×3, first 2 shown]
	v_add_f64_e64 v[31:32], v[14:15], -v[18:19]
	v_add_f64_e32 v[14:15], v[22:23], v[14:15]
	v_fma_f64 v[20:21], v[24:25], -0.5, v[20:21]
	v_add_f64_e64 v[24:25], v[12:13], -v[16:17]
	v_fma_f64 v[22:23], v[26:27], -0.5, v[22:23]
	v_add_f64_e32 v[12:13], v[29:30], v[16:17]
	v_add_f64_e32 v[14:15], v[14:15], v[18:19]
	v_fma_f64 v[16:17], v[31:32], s[12:13], v[20:21]
	s_wait_alu 0xfffe
	v_fma_f64 v[20:21], v[31:32], s[2:3], v[20:21]
	v_fma_f64 v[18:19], v[24:25], s[2:3], v[22:23]
	;; [unrolled: 1-line block ×3, first 2 shown]
	v_mul_lo_u16 v24, 0xab, v35
	v_mul_lo_u16 v25, v28, 3
	s_delay_alu instid0(VALU_DEP_2) | instskip(NEXT) | instid1(VALU_DEP_2)
	v_lshrrev_b16 v43, 9, v24
	v_and_b32_e32 v25, 0xffff, v25
	s_delay_alu instid0(VALU_DEP_2) | instskip(NEXT) | instid1(VALU_DEP_2)
	v_mul_lo_u16 v24, v43, 3
	v_lshl_add_u32 v48, v25, 4, v36
	ds_store_b128 v48, v[12:15]
	ds_store_b128 v48, v[16:19] offset:16
	ds_store_b128 v48, v[20:23] offset:32
	v_sub_nc_u16 v24, v28, v24
	global_wb scope:SCOPE_SE
	s_wait_dscnt 0x0
	s_barrier_signal -1
	s_barrier_wait -1
	global_inv scope:SCOPE_SE
	v_and_b32_e32 v51, 0xff, v24
	s_delay_alu instid0(VALU_DEP_1)
	v_lshlrev_b32_e32 v24, 5, v51
	s_clause 0x1
	global_load_b128 v[16:19], v24, s[10:11]
	global_load_b128 v[12:15], v24, s[10:11] offset:16
	ds_load_b128 v[20:23], v46 offset:1296
	ds_load_b128 v[24:27], v46 offset:2592
	s_wait_loadcnt_dscnt 0x101
	v_mul_f64_e32 v[29:30], v[22:23], v[18:19]
	s_wait_loadcnt_dscnt 0x0
	v_mul_f64_e32 v[31:32], v[26:27], v[14:15]
	v_mul_f64_e32 v[33:34], v[20:21], v[18:19]
	;; [unrolled: 1-line block ×3, first 2 shown]
	s_delay_alu instid0(VALU_DEP_4) | instskip(NEXT) | instid1(VALU_DEP_4)
	v_fma_f64 v[29:30], v[20:21], v[16:17], -v[29:30]
	v_fma_f64 v[24:25], v[24:25], v[12:13], -v[31:32]
	s_delay_alu instid0(VALU_DEP_4) | instskip(NEXT) | instid1(VALU_DEP_4)
	v_fma_f64 v[31:32], v[22:23], v[16:17], v[33:34]
	v_fma_f64 v[26:27], v[26:27], v[12:13], v[37:38]
	ds_load_b128 v[20:23], v46
	global_wb scope:SCOPE_SE
	s_wait_dscnt 0x0
	s_barrier_signal -1
	s_barrier_wait -1
	global_inv scope:SCOPE_SE
	v_add_f64_e32 v[39:40], v[20:21], v[29:30]
	v_add_f64_e32 v[33:34], v[29:30], v[24:25]
	v_add_f64_e64 v[49:50], v[29:30], -v[24:25]
	v_add_f64_e32 v[37:38], v[31:32], v[26:27]
	v_add_f64_e64 v[41:42], v[31:32], -v[26:27]
	v_add_f64_e32 v[31:32], v[22:23], v[31:32]
	v_fma_f64 v[33:34], v[33:34], -0.5, v[20:21]
	v_add_f64_e32 v[20:21], v[39:40], v[24:25]
	v_fma_f64 v[37:38], v[37:38], -0.5, v[22:23]
	s_delay_alu instid0(VALU_DEP_4) | instskip(NEXT) | instid1(VALU_DEP_4)
	v_add_f64_e32 v[22:23], v[31:32], v[26:27]
	v_fma_f64 v[24:25], v[41:42], s[12:13], v[33:34]
	v_fma_f64 v[29:30], v[41:42], s[2:3], v[33:34]
	s_delay_alu instid0(VALU_DEP_4) | instskip(SKIP_3) | instid1(VALU_DEP_2)
	v_fma_f64 v[26:27], v[49:50], s[2:3], v[37:38]
	v_fma_f64 v[31:32], v[49:50], s[12:13], v[37:38]
	v_mul_lo_u16 v33, v35, 57
	v_and_b32_e32 v34, 0xffff, v43
	v_lshrrev_b16 v60, 9, v33
	s_delay_alu instid0(VALU_DEP_2) | instskip(NEXT) | instid1(VALU_DEP_2)
	v_mul_u32_u24_e32 v34, 9, v34
	v_mul_lo_u16 v33, v60, 9
	s_delay_alu instid0(VALU_DEP_1) | instskip(NEXT) | instid1(VALU_DEP_1)
	v_sub_nc_u16 v33, v28, v33
	v_and_b32_e32 v43, 0xff, v33
	s_delay_alu instid0(VALU_DEP_4) | instskip(NEXT) | instid1(VALU_DEP_2)
	v_add_nc_u32_e32 v33, v34, v51
	v_lshlrev_b32_e32 v34, 5, v43
	s_delay_alu instid0(VALU_DEP_2)
	v_lshl_add_u32 v49, v33, 4, v36
	ds_store_b128 v49, v[20:23]
	ds_store_b128 v49, v[24:27] offset:48
	ds_store_b128 v49, v[29:32] offset:96
	global_wb scope:SCOPE_SE
	s_wait_dscnt 0x0
	s_barrier_signal -1
	s_barrier_wait -1
	global_inv scope:SCOPE_SE
	s_clause 0x1
	global_load_b128 v[24:27], v34, s[10:11] offset:96
	global_load_b128 v[20:23], v34, s[10:11] offset:112
	ds_load_b128 v[29:32], v46 offset:1296
	ds_load_b128 v[37:40], v46 offset:2592
	s_wait_loadcnt_dscnt 0x101
	v_mul_f64_e32 v[33:34], v[31:32], v[26:27]
	s_wait_loadcnt_dscnt 0x0
	v_mul_f64_e32 v[41:42], v[39:40], v[22:23]
	v_mul_f64_e32 v[50:51], v[29:30], v[26:27]
	;; [unrolled: 1-line block ×3, first 2 shown]
	s_delay_alu instid0(VALU_DEP_4) | instskip(NEXT) | instid1(VALU_DEP_4)
	v_fma_f64 v[33:34], v[29:30], v[24:25], -v[33:34]
	v_fma_f64 v[37:38], v[37:38], v[20:21], -v[41:42]
	s_delay_alu instid0(VALU_DEP_4) | instskip(NEXT) | instid1(VALU_DEP_4)
	v_fma_f64 v[41:42], v[31:32], v[24:25], v[50:51]
	v_fma_f64 v[39:40], v[39:40], v[20:21], v[52:53]
	ds_load_b128 v[29:32], v46
	global_wb scope:SCOPE_SE
	s_wait_dscnt 0x0
	s_barrier_signal -1
	s_barrier_wait -1
	global_inv scope:SCOPE_SE
	v_add_f64_e32 v[54:55], v[29:30], v[33:34]
	v_add_f64_e32 v[50:51], v[33:34], v[37:38]
	v_add_f64_e64 v[33:34], v[33:34], -v[37:38]
	v_add_f64_e32 v[52:53], v[41:42], v[39:40]
	v_add_f64_e64 v[56:57], v[41:42], -v[39:40]
	v_add_f64_e32 v[41:42], v[31:32], v[41:42]
	v_fma_f64 v[50:51], v[50:51], -0.5, v[29:30]
	v_add_f64_e32 v[29:30], v[54:55], v[37:38]
	v_fma_f64 v[58:59], v[52:53], -0.5, v[31:32]
	s_delay_alu instid0(VALU_DEP_4) | instskip(NEXT) | instid1(VALU_DEP_4)
	v_add_f64_e32 v[31:32], v[41:42], v[39:40]
	v_fma_f64 v[37:38], v[56:57], s[12:13], v[50:51]
	v_fma_f64 v[51:52], v[56:57], s[2:3], v[50:51]
	s_delay_alu instid0(VALU_DEP_4) | instskip(SKIP_3) | instid1(VALU_DEP_2)
	v_fma_f64 v[39:40], v[33:34], s[2:3], v[58:59]
	v_fma_f64 v[53:54], v[33:34], s[12:13], v[58:59]
	v_mul_lo_u16 v33, v35, 19
	v_and_b32_e32 v34, 0xffff, v60
	v_lshrrev_b16 v65, 9, v33
	s_delay_alu instid0(VALU_DEP_1) | instskip(NEXT) | instid1(VALU_DEP_1)
	v_mul_lo_u16 v33, v65, 27
	v_sub_nc_u16 v28, v28, v33
	s_delay_alu instid0(VALU_DEP_4) | instskip(NEXT) | instid1(VALU_DEP_2)
	v_mul_u32_u24_e32 v33, 27, v34
	v_and_b32_e32 v66, 0xff, v28
	s_delay_alu instid0(VALU_DEP_2) | instskip(NEXT) | instid1(VALU_DEP_2)
	v_add_nc_u32_e32 v28, v33, v43
	v_lshlrev_b32_e32 v41, 5, v66
	s_delay_alu instid0(VALU_DEP_2)
	v_lshl_add_u32 v50, v28, 4, v36
	ds_store_b128 v50, v[29:32]
	ds_store_b128 v50, v[37:40] offset:144
	ds_store_b128 v50, v[51:54] offset:288
	global_wb scope:SCOPE_SE
	s_wait_dscnt 0x0
	s_barrier_signal -1
	s_barrier_wait -1
	global_inv scope:SCOPE_SE
	s_clause 0x1
	global_load_b128 v[32:35], v41, s[10:11] offset:384
	global_load_b128 v[28:31], v41, s[10:11] offset:400
	ds_load_b128 v[37:40], v46 offset:1296
	ds_load_b128 v[51:54], v46 offset:2592
	s_wait_loadcnt_dscnt 0x101
	v_mul_f64_e32 v[41:42], v[39:40], v[34:35]
	s_wait_loadcnt_dscnt 0x0
	v_mul_f64_e32 v[55:56], v[53:54], v[30:31]
	v_mul_f64_e32 v[57:58], v[37:38], v[34:35]
	;; [unrolled: 1-line block ×3, first 2 shown]
	s_delay_alu instid0(VALU_DEP_4) | instskip(NEXT) | instid1(VALU_DEP_4)
	v_fma_f64 v[41:42], v[37:38], v[32:33], -v[41:42]
	v_fma_f64 v[51:52], v[51:52], v[28:29], -v[55:56]
	s_delay_alu instid0(VALU_DEP_4) | instskip(NEXT) | instid1(VALU_DEP_4)
	v_fma_f64 v[55:56], v[39:40], v[32:33], v[57:58]
	v_fma_f64 v[53:54], v[53:54], v[28:29], v[59:60]
	ds_load_b128 v[37:40], v46
	global_wb scope:SCOPE_SE
	s_wait_dscnt 0x0
	s_barrier_signal -1
	s_barrier_wait -1
	global_inv scope:SCOPE_SE
	v_add_f64_e32 v[61:62], v[37:38], v[41:42]
	v_add_f64_e32 v[57:58], v[41:42], v[51:52]
	v_add_f64_e64 v[41:42], v[41:42], -v[51:52]
	v_add_f64_e32 v[59:60], v[55:56], v[53:54]
	v_add_f64_e64 v[63:64], v[55:56], -v[53:54]
	v_add_f64_e32 v[55:56], v[39:40], v[55:56]
	v_fma_f64 v[57:58], v[57:58], -0.5, v[37:38]
	v_add_f64_e32 v[37:38], v[61:62], v[51:52]
	v_fma_f64 v[59:60], v[59:60], -0.5, v[39:40]
	s_delay_alu instid0(VALU_DEP_4) | instskip(NEXT) | instid1(VALU_DEP_4)
	v_add_f64_e32 v[39:40], v[55:56], v[53:54]
	v_fma_f64 v[52:53], v[63:64], s[12:13], v[57:58]
	v_fma_f64 v[56:57], v[63:64], s[2:3], v[57:58]
	s_delay_alu instid0(VALU_DEP_4) | instskip(SKIP_3) | instid1(VALU_DEP_2)
	v_fma_f64 v[54:55], v[41:42], s[2:3], v[59:60]
	v_fma_f64 v[58:59], v[41:42], s[12:13], v[59:60]
	v_and_b32_e32 v41, 0xffff, v65
	v_lshlrev_b32_e32 v60, 5, v45
	v_mul_u32_u24_e32 v41, 0x51, v41
	s_delay_alu instid0(VALU_DEP_1) | instskip(NEXT) | instid1(VALU_DEP_1)
	v_add_nc_u32_e32 v41, v41, v66
	v_lshl_add_u32 v51, v41, 4, v36
	ds_store_b128 v51, v[37:40]
	ds_store_b128 v51, v[52:55] offset:432
	ds_store_b128 v51, v[56:59] offset:864
	global_wb scope:SCOPE_SE
	s_wait_dscnt 0x0
	s_barrier_signal -1
	s_barrier_wait -1
	global_inv scope:SCOPE_SE
	s_clause 0x1
	global_load_b128 v[40:43], v60, s[10:11] offset:1248
	global_load_b128 v[36:39], v60, s[10:11] offset:1264
	ds_load_b128 v[52:55], v46 offset:1296
	ds_load_b128 v[56:59], v46 offset:2592
	s_add_nc_u64 s[10:11], s[8:9], 0xf30
	s_wait_loadcnt_dscnt 0x101
	v_mul_f64_e32 v[60:61], v[54:55], v[42:43]
	s_wait_loadcnt_dscnt 0x0
	v_mul_f64_e32 v[62:63], v[58:59], v[38:39]
	v_mul_f64_e32 v[64:65], v[52:53], v[42:43]
	;; [unrolled: 1-line block ×3, first 2 shown]
	s_delay_alu instid0(VALU_DEP_4) | instskip(NEXT) | instid1(VALU_DEP_4)
	v_fma_f64 v[60:61], v[52:53], v[40:41], -v[60:61]
	v_fma_f64 v[56:57], v[56:57], v[36:37], -v[62:63]
	s_delay_alu instid0(VALU_DEP_4) | instskip(NEXT) | instid1(VALU_DEP_4)
	v_fma_f64 v[62:63], v[54:55], v[40:41], v[64:65]
	v_fma_f64 v[58:59], v[58:59], v[36:37], v[66:67]
	ds_load_b128 v[52:55], v46
	s_wait_dscnt 0x0
	v_add_f64_e32 v[68:69], v[52:53], v[60:61]
	v_add_f64_e32 v[64:65], v[60:61], v[56:57]
	v_add_f64_e64 v[72:73], v[60:61], -v[56:57]
	v_add_f64_e32 v[66:67], v[62:63], v[58:59]
	v_add_f64_e64 v[70:71], v[62:63], -v[58:59]
	v_add_f64_e32 v[62:63], v[54:55], v[62:63]
	v_fma_f64 v[64:65], v[64:65], -0.5, v[52:53]
	v_add_f64_e32 v[52:53], v[68:69], v[56:57]
	v_fma_f64 v[66:67], v[66:67], -0.5, v[54:55]
	s_delay_alu instid0(VALU_DEP_4) | instskip(NEXT) | instid1(VALU_DEP_4)
	v_add_f64_e32 v[54:55], v[62:63], v[58:59]
	v_fma_f64 v[56:57], v[70:71], s[12:13], v[64:65]
	v_fma_f64 v[60:61], v[70:71], s[2:3], v[64:65]
	s_delay_alu instid0(VALU_DEP_4)
	v_fma_f64 v[58:59], v[72:73], s[2:3], v[66:67]
	v_fma_f64 v[62:63], v[72:73], s[12:13], v[66:67]
	ds_store_b128 v46, v[52:55]
	ds_store_b128 v46, v[56:59] offset:1296
	ds_store_b128 v46, v[60:63] offset:2592
	global_wb scope:SCOPE_SE
	s_wait_dscnt 0x0
	s_barrier_signal -1
	s_barrier_wait -1
	global_inv scope:SCOPE_SE
	s_clause 0x2
	global_load_b128 v[52:55], v47, s[8:9] offset:3888
	global_load_b128 v[56:59], v47, s[10:11] offset:1296
	global_load_b128 v[60:63], v47, s[10:11] offset:2592
	ds_load_b128 v[64:67], v46
	ds_load_b128 v[68:71], v46 offset:1296
	ds_load_b128 v[72:75], v46 offset:2592
	s_wait_loadcnt_dscnt 0x202
	v_mul_f64_e32 v[76:77], v[66:67], v[54:55]
	v_mul_f64_e32 v[54:55], v[64:65], v[54:55]
	s_wait_loadcnt_dscnt 0x101
	v_mul_f64_e32 v[78:79], v[70:71], v[58:59]
	v_mul_f64_e32 v[58:59], v[68:69], v[58:59]
	;; [unrolled: 3-line block ×3, first 2 shown]
	v_fma_f64 v[62:63], v[64:65], v[52:53], -v[76:77]
	v_fma_f64 v[64:65], v[66:67], v[52:53], v[54:55]
	v_fma_f64 v[52:53], v[68:69], v[56:57], -v[78:79]
	v_fma_f64 v[54:55], v[70:71], v[56:57], v[58:59]
	;; [unrolled: 2-line block ×3, first 2 shown]
	ds_store_b128 v46, v[62:65]
	ds_store_b128 v46, v[52:55] offset:1296
	ds_store_b128 v46, v[56:59] offset:2592
	global_wb scope:SCOPE_SE
	s_wait_dscnt 0x0
	s_barrier_signal -1
	s_barrier_wait -1
	global_inv scope:SCOPE_SE
	ds_load_b128 v[52:55], v46 offset:1296
	ds_load_b128 v[56:59], v46 offset:2592
	ds_load_b128 v[60:63], v46
	global_wb scope:SCOPE_SE
	s_wait_dscnt 0x0
	s_barrier_signal -1
	s_barrier_wait -1
	global_inv scope:SCOPE_SE
	v_add_f64_e32 v[64:65], v[52:53], v[56:57]
	v_add_f64_e32 v[66:67], v[54:55], v[58:59]
	;; [unrolled: 1-line block ×3, first 2 shown]
	v_add_f64_e64 v[70:71], v[54:55], -v[58:59]
	v_add_f64_e32 v[54:55], v[62:63], v[54:55]
	v_fma_f64 v[60:61], v[64:65], -0.5, v[60:61]
	v_add_f64_e64 v[64:65], v[52:53], -v[56:57]
	v_fma_f64 v[62:63], v[66:67], -0.5, v[62:63]
	v_add_f64_e32 v[52:53], v[68:69], v[56:57]
	v_add_f64_e32 v[54:55], v[54:55], v[58:59]
	v_fma_f64 v[56:57], v[70:71], s[2:3], v[60:61]
	v_fma_f64 v[60:61], v[70:71], s[12:13], v[60:61]
	;; [unrolled: 1-line block ×4, first 2 shown]
	ds_store_b128 v48, v[52:55]
	ds_store_b128 v48, v[56:59] offset:16
	ds_store_b128 v48, v[60:63] offset:32
	global_wb scope:SCOPE_SE
	s_wait_dscnt 0x0
	s_barrier_signal -1
	s_barrier_wait -1
	global_inv scope:SCOPE_SE
	ds_load_b128 v[52:55], v46 offset:1296
	ds_load_b128 v[56:59], v46 offset:2592
	s_wait_dscnt 0x1
	v_mul_f64_e32 v[47:48], v[18:19], v[54:55]
	s_wait_dscnt 0x0
	v_mul_f64_e32 v[60:61], v[14:15], v[58:59]
	v_mul_f64_e32 v[18:19], v[18:19], v[52:53]
	v_mul_f64_e32 v[14:15], v[14:15], v[56:57]
	s_delay_alu instid0(VALU_DEP_4) | instskip(NEXT) | instid1(VALU_DEP_4)
	v_fma_f64 v[47:48], v[16:17], v[52:53], v[47:48]
	v_fma_f64 v[52:53], v[12:13], v[56:57], v[60:61]
	s_delay_alu instid0(VALU_DEP_4) | instskip(NEXT) | instid1(VALU_DEP_4)
	v_fma_f64 v[16:17], v[16:17], v[54:55], -v[18:19]
	v_fma_f64 v[18:19], v[12:13], v[58:59], -v[14:15]
	ds_load_b128 v[12:15], v46
	global_wb scope:SCOPE_SE
	s_wait_dscnt 0x0
	s_barrier_signal -1
	s_barrier_wait -1
	global_inv scope:SCOPE_SE
	v_add_f64_e32 v[58:59], v[12:13], v[47:48]
	v_add_f64_e32 v[54:55], v[47:48], v[52:53]
	v_add_f64_e64 v[47:48], v[47:48], -v[52:53]
	v_add_f64_e32 v[56:57], v[16:17], v[18:19]
	v_add_f64_e64 v[60:61], v[16:17], -v[18:19]
	v_add_f64_e32 v[16:17], v[14:15], v[16:17]
	v_fma_f64 v[54:55], v[54:55], -0.5, v[12:13]
	v_add_f64_e32 v[12:13], v[58:59], v[52:53]
	v_fma_f64 v[56:57], v[56:57], -0.5, v[14:15]
	s_delay_alu instid0(VALU_DEP_4) | instskip(NEXT) | instid1(VALU_DEP_4)
	v_add_f64_e32 v[14:15], v[16:17], v[18:19]
	v_fma_f64 v[16:17], v[60:61], s[2:3], v[54:55]
	v_fma_f64 v[52:53], v[60:61], s[12:13], v[54:55]
	s_delay_alu instid0(VALU_DEP_4)
	v_fma_f64 v[18:19], v[47:48], s[12:13], v[56:57]
	v_fma_f64 v[54:55], v[47:48], s[2:3], v[56:57]
	ds_store_b128 v49, v[12:15]
	ds_store_b128 v49, v[16:19] offset:48
	ds_store_b128 v49, v[52:55] offset:96
	global_wb scope:SCOPE_SE
	s_wait_dscnt 0x0
	s_barrier_signal -1
	s_barrier_wait -1
	global_inv scope:SCOPE_SE
	ds_load_b128 v[12:15], v46 offset:1296
	ds_load_b128 v[16:19], v46 offset:2592
	s_wait_dscnt 0x1
	v_mul_f64_e32 v[47:48], v[26:27], v[14:15]
	s_wait_dscnt 0x0
	v_mul_f64_e32 v[52:53], v[22:23], v[18:19]
	v_mul_f64_e32 v[26:27], v[26:27], v[12:13]
	v_mul_f64_e32 v[22:23], v[22:23], v[16:17]
	s_delay_alu instid0(VALU_DEP_4) | instskip(NEXT) | instid1(VALU_DEP_4)
	v_fma_f64 v[47:48], v[24:25], v[12:13], v[47:48]
	v_fma_f64 v[16:17], v[20:21], v[16:17], v[52:53]
	s_delay_alu instid0(VALU_DEP_4) | instskip(NEXT) | instid1(VALU_DEP_4)
	v_fma_f64 v[24:25], v[24:25], v[14:15], -v[26:27]
	v_fma_f64 v[18:19], v[20:21], v[18:19], -v[22:23]
	ds_load_b128 v[12:15], v46
	global_wb scope:SCOPE_SE
	s_wait_dscnt 0x0
	s_barrier_signal -1
	s_barrier_wait -1
	global_inv scope:SCOPE_SE
	v_add_f64_e32 v[26:27], v[12:13], v[47:48]
	v_add_f64_e32 v[20:21], v[47:48], v[16:17]
	v_add_f64_e64 v[47:48], v[47:48], -v[16:17]
	v_add_f64_e32 v[22:23], v[24:25], v[18:19]
	v_add_f64_e64 v[52:53], v[24:25], -v[18:19]
	v_add_f64_e32 v[24:25], v[14:15], v[24:25]
	v_fma_f64 v[20:21], v[20:21], -0.5, v[12:13]
	v_add_f64_e32 v[12:13], v[26:27], v[16:17]
	v_fma_f64 v[22:23], v[22:23], -0.5, v[14:15]
	s_delay_alu instid0(VALU_DEP_4) | instskip(NEXT) | instid1(VALU_DEP_4)
	v_add_f64_e32 v[14:15], v[24:25], v[18:19]
	v_fma_f64 v[16:17], v[52:53], s[2:3], v[20:21]
	v_fma_f64 v[20:21], v[52:53], s[12:13], v[20:21]
	s_delay_alu instid0(VALU_DEP_4)
	v_fma_f64 v[18:19], v[47:48], s[12:13], v[22:23]
	v_fma_f64 v[22:23], v[47:48], s[2:3], v[22:23]
	;; [unrolled: 44-line block ×3, first 2 shown]
	ds_store_b128 v51, v[12:15]
	ds_store_b128 v51, v[16:19] offset:432
	ds_store_b128 v51, v[20:23] offset:864
	global_wb scope:SCOPE_SE
	s_wait_dscnt 0x0
	s_barrier_signal -1
	s_barrier_wait -1
	global_inv scope:SCOPE_SE
	ds_load_b128 v[12:15], v46 offset:1296
	ds_load_b128 v[16:19], v46 offset:2592
	s_wait_dscnt 0x1
	v_mul_f64_e32 v[20:21], v[42:43], v[14:15]
	s_wait_dscnt 0x0
	v_mul_f64_e32 v[22:23], v[38:39], v[18:19]
	v_mul_f64_e32 v[24:25], v[42:43], v[12:13]
	;; [unrolled: 1-line block ×3, first 2 shown]
	s_delay_alu instid0(VALU_DEP_4) | instskip(NEXT) | instid1(VALU_DEP_4)
	v_fma_f64 v[20:21], v[40:41], v[12:13], v[20:21]
	v_fma_f64 v[16:17], v[36:37], v[16:17], v[22:23]
	s_delay_alu instid0(VALU_DEP_4) | instskip(NEXT) | instid1(VALU_DEP_4)
	v_fma_f64 v[22:23], v[40:41], v[14:15], -v[24:25]
	v_fma_f64 v[18:19], v[36:37], v[18:19], -v[26:27]
	ds_load_b128 v[12:15], v46
	s_wait_dscnt 0x0
	v_add_f64_e32 v[28:29], v[12:13], v[20:21]
	v_add_f64_e32 v[24:25], v[20:21], v[16:17]
	v_add_f64_e64 v[32:33], v[20:21], -v[16:17]
	v_add_f64_e32 v[26:27], v[22:23], v[18:19]
	v_add_f64_e64 v[30:31], v[22:23], -v[18:19]
	v_add_f64_e32 v[22:23], v[14:15], v[22:23]
	v_fma_f64 v[24:25], v[24:25], -0.5, v[12:13]
	v_add_f64_e32 v[12:13], v[28:29], v[16:17]
	v_fma_f64 v[26:27], v[26:27], -0.5, v[14:15]
	s_delay_alu instid0(VALU_DEP_4) | instskip(NEXT) | instid1(VALU_DEP_4)
	v_add_f64_e32 v[14:15], v[22:23], v[18:19]
	v_fma_f64 v[16:17], v[30:31], s[2:3], v[24:25]
	v_fma_f64 v[20:21], v[30:31], s[12:13], v[24:25]
	s_delay_alu instid0(VALU_DEP_4)
	v_fma_f64 v[18:19], v[32:33], s[12:13], v[26:27]
	v_fma_f64 v[22:23], v[32:33], s[2:3], v[26:27]
	ds_store_b128 v46, v[12:15]
	ds_store_b128 v46, v[16:19] offset:1296
	ds_store_b128 v46, v[20:23] offset:2592
	global_wb scope:SCOPE_SE
	s_wait_dscnt 0x0
	s_barrier_signal -1
	s_barrier_wait -1
	global_inv scope:SCOPE_SE
	ds_load_b128 v[12:15], v46
	ds_load_b128 v[16:19], v46 offset:1296
	ds_load_b128 v[20:23], v46 offset:2592
	s_mov_b32 s2, 0xa88f4696
	s_mov_b32 s3, 0x3f70db20
	s_wait_dscnt 0x2
	v_mul_f64_e32 v[24:25], v[6:7], v[14:15]
	v_mul_f64_e32 v[6:7], v[6:7], v[12:13]
	s_wait_dscnt 0x1
	v_mul_f64_e32 v[26:27], v[2:3], v[18:19]
	v_mul_f64_e32 v[2:3], v[2:3], v[16:17]
	s_wait_dscnt 0x0
	v_mul_f64_e32 v[28:29], v[10:11], v[22:23]
	v_mul_f64_e32 v[10:11], v[10:11], v[20:21]
	v_fma_f64 v[12:13], v[4:5], v[12:13], v[24:25]
	v_fma_f64 v[4:5], v[4:5], v[14:15], -v[6:7]
	v_fma_f64 v[6:7], v[0:1], v[16:17], v[26:27]
	v_fma_f64 v[14:15], v[0:1], v[18:19], -v[2:3]
	;; [unrolled: 2-line block ×3, first 2 shown]
	v_mad_co_u64_u32 v[0:1], null, s6, v44, 0
	v_mad_co_u64_u32 v[2:3], null, s4, v45, 0
	s_delay_alu instid0(VALU_DEP_1) | instskip(NEXT) | instid1(VALU_DEP_1)
	v_mad_co_u64_u32 v[8:9], null, s7, v44, v[1:2]
	v_mov_b32_e32 v1, v8
	s_delay_alu instid0(VALU_DEP_3) | instskip(SKIP_3) | instid1(VALU_DEP_3)
	v_mad_co_u64_u32 v[18:19], null, s5, v45, v[3:4]
	s_wait_alu 0xfffe
	v_mul_f64_e32 v[8:9], s[2:3], v[16:17]
	v_mul_f64_e32 v[10:11], s[2:3], v[10:11]
	v_mov_b32_e32 v3, v18
	v_lshlrev_b64_e32 v[18:19], 4, v[0:1]
	v_mul_f64_e32 v[0:1], s[2:3], v[12:13]
	s_delay_alu instid0(VALU_DEP_3)
	v_lshlrev_b64_e32 v[20:21], 4, v[2:3]
	v_mul_f64_e32 v[2:3], s[2:3], v[4:5]
	v_mul_f64_e32 v[4:5], s[2:3], v[6:7]
	;; [unrolled: 1-line block ×3, first 2 shown]
	v_add_co_u32 v12, vcc_lo, s0, v18
	s_wait_alu 0xfffd
	v_add_co_ci_u32_e32 v13, vcc_lo, s1, v19, vcc_lo
	s_mul_i32 s0, s5, 0x510
	s_delay_alu instid0(VALU_DEP_2) | instskip(SKIP_1) | instid1(VALU_DEP_2)
	v_add_co_u32 v12, vcc_lo, v12, v20
	s_wait_alu 0xfffd
	v_add_co_ci_u32_e32 v13, vcc_lo, v13, v21, vcc_lo
	s_delay_alu instid0(VALU_DEP_1) | instskip(SKIP_1) | instid1(VALU_DEP_1)
	v_mad_co_u64_u32 v[14:15], null, 0x510, s4, v[12:13]
	s_wait_alu 0xfffe
	v_add_nc_u32_e32 v15, s0, v15
	s_delay_alu instid0(VALU_DEP_1) | instskip(NEXT) | instid1(VALU_DEP_1)
	v_mad_co_u64_u32 v[16:17], null, 0x510, s4, v[14:15]
	v_add_nc_u32_e32 v17, s0, v17
	s_clause 0x2
	global_store_b128 v[12:13], v[0:3], off
	global_store_b128 v[14:15], v[4:7], off
	;; [unrolled: 1-line block ×3, first 2 shown]
.LBB0_2:
	s_nop 0
	s_sendmsg sendmsg(MSG_DEALLOC_VGPRS)
	s_endpgm
	.section	.rodata,"a",@progbits
	.p2align	6, 0x0
	.amdhsa_kernel bluestein_single_fwd_len243_dim1_dp_op_CI_CI
		.amdhsa_group_segment_fixed_size 11664
		.amdhsa_private_segment_fixed_size 0
		.amdhsa_kernarg_size 104
		.amdhsa_user_sgpr_count 2
		.amdhsa_user_sgpr_dispatch_ptr 0
		.amdhsa_user_sgpr_queue_ptr 0
		.amdhsa_user_sgpr_kernarg_segment_ptr 1
		.amdhsa_user_sgpr_dispatch_id 0
		.amdhsa_user_sgpr_private_segment_size 0
		.amdhsa_wavefront_size32 1
		.amdhsa_uses_dynamic_stack 0
		.amdhsa_enable_private_segment 0
		.amdhsa_system_sgpr_workgroup_id_x 1
		.amdhsa_system_sgpr_workgroup_id_y 0
		.amdhsa_system_sgpr_workgroup_id_z 0
		.amdhsa_system_sgpr_workgroup_info 0
		.amdhsa_system_vgpr_workitem_id 0
		.amdhsa_next_free_vgpr 84
		.amdhsa_next_free_sgpr 16
		.amdhsa_reserve_vcc 1
		.amdhsa_float_round_mode_32 0
		.amdhsa_float_round_mode_16_64 0
		.amdhsa_float_denorm_mode_32 3
		.amdhsa_float_denorm_mode_16_64 3
		.amdhsa_fp16_overflow 0
		.amdhsa_workgroup_processor_mode 1
		.amdhsa_memory_ordered 1
		.amdhsa_forward_progress 0
		.amdhsa_round_robin_scheduling 0
		.amdhsa_exception_fp_ieee_invalid_op 0
		.amdhsa_exception_fp_denorm_src 0
		.amdhsa_exception_fp_ieee_div_zero 0
		.amdhsa_exception_fp_ieee_overflow 0
		.amdhsa_exception_fp_ieee_underflow 0
		.amdhsa_exception_fp_ieee_inexact 0
		.amdhsa_exception_int_div_zero 0
	.end_amdhsa_kernel
	.text
.Lfunc_end0:
	.size	bluestein_single_fwd_len243_dim1_dp_op_CI_CI, .Lfunc_end0-bluestein_single_fwd_len243_dim1_dp_op_CI_CI
                                        ; -- End function
	.section	.AMDGPU.csdata,"",@progbits
; Kernel info:
; codeLenInByte = 4176
; NumSgprs: 18
; NumVgprs: 84
; ScratchSize: 0
; MemoryBound: 0
; FloatMode: 240
; IeeeMode: 1
; LDSByteSize: 11664 bytes/workgroup (compile time only)
; SGPRBlocks: 2
; VGPRBlocks: 10
; NumSGPRsForWavesPerEU: 18
; NumVGPRsForWavesPerEU: 84
; Occupancy: 16
; WaveLimiterHint : 1
; COMPUTE_PGM_RSRC2:SCRATCH_EN: 0
; COMPUTE_PGM_RSRC2:USER_SGPR: 2
; COMPUTE_PGM_RSRC2:TRAP_HANDLER: 0
; COMPUTE_PGM_RSRC2:TGID_X_EN: 1
; COMPUTE_PGM_RSRC2:TGID_Y_EN: 0
; COMPUTE_PGM_RSRC2:TGID_Z_EN: 0
; COMPUTE_PGM_RSRC2:TIDIG_COMP_CNT: 0
	.text
	.p2alignl 7, 3214868480
	.fill 96, 4, 3214868480
	.type	__hip_cuid_90e3ce693f2c679e,@object ; @__hip_cuid_90e3ce693f2c679e
	.section	.bss,"aw",@nobits
	.globl	__hip_cuid_90e3ce693f2c679e
__hip_cuid_90e3ce693f2c679e:
	.byte	0                               ; 0x0
	.size	__hip_cuid_90e3ce693f2c679e, 1

	.ident	"AMD clang version 19.0.0git (https://github.com/RadeonOpenCompute/llvm-project roc-6.4.0 25133 c7fe45cf4b819c5991fe208aaa96edf142730f1d)"
	.section	".note.GNU-stack","",@progbits
	.addrsig
	.addrsig_sym __hip_cuid_90e3ce693f2c679e
	.amdgpu_metadata
---
amdhsa.kernels:
  - .args:
      - .actual_access:  read_only
        .address_space:  global
        .offset:         0
        .size:           8
        .value_kind:     global_buffer
      - .actual_access:  read_only
        .address_space:  global
        .offset:         8
        .size:           8
        .value_kind:     global_buffer
      - .actual_access:  read_only
        .address_space:  global
        .offset:         16
        .size:           8
        .value_kind:     global_buffer
      - .actual_access:  read_only
        .address_space:  global
        .offset:         24
        .size:           8
        .value_kind:     global_buffer
      - .actual_access:  read_only
        .address_space:  global
        .offset:         32
        .size:           8
        .value_kind:     global_buffer
      - .offset:         40
        .size:           8
        .value_kind:     by_value
      - .address_space:  global
        .offset:         48
        .size:           8
        .value_kind:     global_buffer
      - .address_space:  global
        .offset:         56
        .size:           8
        .value_kind:     global_buffer
      - .address_space:  global
        .offset:         64
        .size:           8
        .value_kind:     global_buffer
      - .address_space:  global
        .offset:         72
        .size:           8
        .value_kind:     global_buffer
      - .offset:         80
        .size:           4
        .value_kind:     by_value
      - .address_space:  global
        .offset:         88
        .size:           8
        .value_kind:     global_buffer
      - .address_space:  global
        .offset:         96
        .size:           8
        .value_kind:     global_buffer
    .group_segment_fixed_size: 11664
    .kernarg_segment_align: 8
    .kernarg_segment_size: 104
    .language:       OpenCL C
    .language_version:
      - 2
      - 0
    .max_flat_workgroup_size: 243
    .name:           bluestein_single_fwd_len243_dim1_dp_op_CI_CI
    .private_segment_fixed_size: 0
    .sgpr_count:     18
    .sgpr_spill_count: 0
    .symbol:         bluestein_single_fwd_len243_dim1_dp_op_CI_CI.kd
    .uniform_work_group_size: 1
    .uses_dynamic_stack: false
    .vgpr_count:     84
    .vgpr_spill_count: 0
    .wavefront_size: 32
    .workgroup_processor_mode: 1
amdhsa.target:   amdgcn-amd-amdhsa--gfx1201
amdhsa.version:
  - 1
  - 2
...

	.end_amdgpu_metadata
